;; amdgpu-corpus repo=ROCm/rocFFT kind=compiled arch=gfx950 opt=O3
	.text
	.amdgcn_target "amdgcn-amd-amdhsa--gfx950"
	.amdhsa_code_object_version 6
	.protected	fft_rtc_back_len990_factors_2_3_3_5_11_wgs_110_tpt_110_dp_ip_CI_unitstride_sbrr_dirReg ; -- Begin function fft_rtc_back_len990_factors_2_3_3_5_11_wgs_110_tpt_110_dp_ip_CI_unitstride_sbrr_dirReg
	.globl	fft_rtc_back_len990_factors_2_3_3_5_11_wgs_110_tpt_110_dp_ip_CI_unitstride_sbrr_dirReg
	.p2align	8
	.type	fft_rtc_back_len990_factors_2_3_3_5_11_wgs_110_tpt_110_dp_ip_CI_unitstride_sbrr_dirReg,@function
fft_rtc_back_len990_factors_2_3_3_5_11_wgs_110_tpt_110_dp_ip_CI_unitstride_sbrr_dirReg: ; @fft_rtc_back_len990_factors_2_3_3_5_11_wgs_110_tpt_110_dp_ip_CI_unitstride_sbrr_dirReg
; %bb.0:
	s_load_dwordx2 s[8:9], s[0:1], 0x50
	s_load_dwordx4 s[4:7], s[0:1], 0x0
	s_load_dwordx2 s[10:11], s[0:1], 0x18
	v_mul_u32_u24_e32 v1, 0x254, v0
	v_add_u32_sdwa v6, s2, v1 dst_sel:DWORD dst_unused:UNUSED_PAD src0_sel:DWORD src1_sel:WORD_1
	v_mov_b32_e32 v4, 0
	s_waitcnt lgkmcnt(0)
	v_cmp_lt_u64_e64 s[2:3], s[6:7], 2
	v_mov_b32_e32 v7, v4
	s_and_b64 vcc, exec, s[2:3]
	v_mov_b64_e32 v[2:3], 0
	s_cbranch_vccnz .LBB0_8
; %bb.1:
	s_load_dwordx2 s[2:3], s[0:1], 0x10
	s_add_u32 s12, s10, 8
	s_addc_u32 s13, s11, 0
	s_mov_b64 s[14:15], 1
	v_mov_b64_e32 v[2:3], 0
	s_waitcnt lgkmcnt(0)
	s_add_u32 s16, s2, 8
	s_addc_u32 s17, s3, 0
.LBB0_2:                                ; =>This Inner Loop Header: Depth=1
	s_load_dwordx2 s[18:19], s[16:17], 0x0
                                        ; implicit-def: $vgpr8_vgpr9
	s_waitcnt lgkmcnt(0)
	v_or_b32_e32 v5, s19, v7
	v_cmp_ne_u64_e32 vcc, 0, v[4:5]
	s_and_saveexec_b64 s[2:3], vcc
	s_xor_b64 s[20:21], exec, s[2:3]
	s_cbranch_execz .LBB0_4
; %bb.3:                                ;   in Loop: Header=BB0_2 Depth=1
	v_cvt_f32_u32_e32 v1, s18
	v_cvt_f32_u32_e32 v5, s19
	s_sub_u32 s2, 0, s18
	s_subb_u32 s3, 0, s19
	v_fmac_f32_e32 v1, 0x4f800000, v5
	v_rcp_f32_e32 v1, v1
	s_nop 0
	v_mul_f32_e32 v1, 0x5f7ffffc, v1
	v_mul_f32_e32 v5, 0x2f800000, v1
	v_trunc_f32_e32 v5, v5
	v_fmac_f32_e32 v1, 0xcf800000, v5
	v_cvt_u32_f32_e32 v5, v5
	v_cvt_u32_f32_e32 v1, v1
	v_mul_lo_u32 v8, s2, v5
	v_mul_hi_u32 v10, s2, v1
	v_mul_lo_u32 v9, s3, v1
	v_add_u32_e32 v10, v10, v8
	v_mul_lo_u32 v12, s2, v1
	v_add_u32_e32 v13, v10, v9
	v_mul_hi_u32 v8, v1, v12
	v_mul_hi_u32 v11, v1, v13
	v_mul_lo_u32 v10, v1, v13
	v_mov_b32_e32 v9, v4
	v_lshl_add_u64 v[8:9], v[8:9], 0, v[10:11]
	v_mul_hi_u32 v11, v5, v12
	v_mul_lo_u32 v12, v5, v12
	v_add_co_u32_e32 v8, vcc, v8, v12
	v_mul_hi_u32 v10, v5, v13
	s_nop 0
	v_addc_co_u32_e32 v8, vcc, v9, v11, vcc
	v_mov_b32_e32 v9, v4
	s_nop 0
	v_addc_co_u32_e32 v11, vcc, 0, v10, vcc
	v_mul_lo_u32 v10, v5, v13
	v_lshl_add_u64 v[8:9], v[8:9], 0, v[10:11]
	v_add_co_u32_e32 v1, vcc, v1, v8
	v_mul_lo_u32 v10, s2, v1
	s_nop 0
	v_addc_co_u32_e32 v5, vcc, v5, v9, vcc
	v_mul_lo_u32 v8, s2, v5
	v_mul_hi_u32 v9, s2, v1
	v_add_u32_e32 v8, v9, v8
	v_mul_lo_u32 v9, s3, v1
	v_add_u32_e32 v12, v8, v9
	v_mul_hi_u32 v14, v5, v10
	v_mul_lo_u32 v15, v5, v10
	v_mul_hi_u32 v9, v1, v12
	v_mul_lo_u32 v8, v1, v12
	v_mul_hi_u32 v10, v1, v10
	v_mov_b32_e32 v11, v4
	v_lshl_add_u64 v[8:9], v[10:11], 0, v[8:9]
	v_add_co_u32_e32 v8, vcc, v8, v15
	v_mul_hi_u32 v13, v5, v12
	s_nop 0
	v_addc_co_u32_e32 v8, vcc, v9, v14, vcc
	v_mul_lo_u32 v10, v5, v12
	s_nop 0
	v_addc_co_u32_e32 v11, vcc, 0, v13, vcc
	v_mov_b32_e32 v9, v4
	v_lshl_add_u64 v[8:9], v[8:9], 0, v[10:11]
	v_add_co_u32_e32 v1, vcc, v1, v8
	v_mul_hi_u32 v10, v6, v1
	s_nop 0
	v_addc_co_u32_e32 v5, vcc, v5, v9, vcc
	v_mad_u64_u32 v[8:9], s[2:3], v6, v5, 0
	v_mov_b32_e32 v11, v4
	v_lshl_add_u64 v[8:9], v[10:11], 0, v[8:9]
	v_mad_u64_u32 v[12:13], s[2:3], v7, v1, 0
	v_add_co_u32_e32 v1, vcc, v8, v12
	v_mad_u64_u32 v[10:11], s[2:3], v7, v5, 0
	s_nop 0
	v_addc_co_u32_e32 v8, vcc, v9, v13, vcc
	v_mov_b32_e32 v9, v4
	s_nop 0
	v_addc_co_u32_e32 v11, vcc, 0, v11, vcc
	v_lshl_add_u64 v[8:9], v[8:9], 0, v[10:11]
	v_mul_lo_u32 v1, s19, v8
	v_mul_lo_u32 v5, s18, v9
	v_mad_u64_u32 v[10:11], s[2:3], s18, v8, 0
	v_add3_u32 v1, v11, v5, v1
	v_sub_u32_e32 v5, v7, v1
	v_mov_b32_e32 v11, s19
	v_sub_co_u32_e32 v14, vcc, v6, v10
	v_lshl_add_u64 v[12:13], v[8:9], 0, 1
	s_nop 0
	v_subb_co_u32_e64 v5, s[2:3], v5, v11, vcc
	v_subrev_co_u32_e64 v10, s[2:3], s18, v14
	v_subb_co_u32_e32 v1, vcc, v7, v1, vcc
	s_nop 0
	v_subbrev_co_u32_e64 v5, s[2:3], 0, v5, s[2:3]
	v_cmp_le_u32_e64 s[2:3], s19, v5
	v_cmp_le_u32_e32 vcc, s19, v1
	s_nop 0
	v_cndmask_b32_e64 v11, 0, -1, s[2:3]
	v_cmp_le_u32_e64 s[2:3], s18, v10
	s_nop 1
	v_cndmask_b32_e64 v10, 0, -1, s[2:3]
	v_cmp_eq_u32_e64 s[2:3], s19, v5
	s_nop 1
	v_cndmask_b32_e64 v5, v11, v10, s[2:3]
	v_lshl_add_u64 v[10:11], v[8:9], 0, 2
	v_cmp_ne_u32_e64 s[2:3], 0, v5
	s_nop 1
	v_cndmask_b32_e64 v5, v13, v11, s[2:3]
	v_cndmask_b32_e64 v11, 0, -1, vcc
	v_cmp_le_u32_e32 vcc, s18, v14
	s_nop 1
	v_cndmask_b32_e64 v13, 0, -1, vcc
	v_cmp_eq_u32_e32 vcc, s19, v1
	s_nop 1
	v_cndmask_b32_e32 v1, v11, v13, vcc
	v_cmp_ne_u32_e32 vcc, 0, v1
	v_cndmask_b32_e64 v1, v12, v10, s[2:3]
	s_nop 0
	v_cndmask_b32_e32 v9, v9, v5, vcc
	v_cndmask_b32_e32 v8, v8, v1, vcc
.LBB0_4:                                ;   in Loop: Header=BB0_2 Depth=1
	s_andn2_saveexec_b64 s[2:3], s[20:21]
	s_cbranch_execz .LBB0_6
; %bb.5:                                ;   in Loop: Header=BB0_2 Depth=1
	v_cvt_f32_u32_e32 v1, s18
	s_sub_i32 s20, 0, s18
	v_rcp_iflag_f32_e32 v1, v1
	s_nop 0
	v_mul_f32_e32 v1, 0x4f7ffffe, v1
	v_cvt_u32_f32_e32 v1, v1
	v_mul_lo_u32 v5, s20, v1
	v_mul_hi_u32 v5, v1, v5
	v_add_u32_e32 v1, v1, v5
	v_mul_hi_u32 v1, v6, v1
	v_mul_lo_u32 v5, v1, s18
	v_sub_u32_e32 v5, v6, v5
	v_add_u32_e32 v8, 1, v1
	v_subrev_u32_e32 v9, s18, v5
	v_cmp_le_u32_e32 vcc, s18, v5
	s_nop 1
	v_cndmask_b32_e32 v5, v5, v9, vcc
	v_cndmask_b32_e32 v1, v1, v8, vcc
	v_add_u32_e32 v8, 1, v1
	v_cmp_le_u32_e32 vcc, s18, v5
	v_mov_b32_e32 v9, v4
	s_nop 0
	v_cndmask_b32_e32 v8, v1, v8, vcc
.LBB0_6:                                ;   in Loop: Header=BB0_2 Depth=1
	s_or_b64 exec, exec, s[2:3]
	v_mad_u64_u32 v[10:11], s[2:3], v8, s18, 0
	s_load_dwordx2 s[2:3], s[12:13], 0x0
	v_mul_lo_u32 v1, v9, s18
	v_mul_lo_u32 v5, v8, s19
	v_add3_u32 v1, v11, v5, v1
	v_sub_co_u32_e32 v5, vcc, v6, v10
	s_add_u32 s14, s14, 1
	s_nop 0
	v_subb_co_u32_e32 v1, vcc, v7, v1, vcc
	s_addc_u32 s15, s15, 0
	s_waitcnt lgkmcnt(0)
	v_mul_lo_u32 v1, s2, v1
	v_mul_lo_u32 v6, s3, v5
	v_mad_u64_u32 v[2:3], s[2:3], s2, v5, v[2:3]
	s_add_u32 s12, s12, 8
	v_add3_u32 v3, v6, v3, v1
	s_addc_u32 s13, s13, 0
	v_mov_b64_e32 v[6:7], s[6:7]
	s_add_u32 s16, s16, 8
	v_cmp_ge_u64_e32 vcc, s[14:15], v[6:7]
	s_addc_u32 s17, s17, 0
	s_cbranch_vccnz .LBB0_9
; %bb.7:                                ;   in Loop: Header=BB0_2 Depth=1
	v_mov_b64_e32 v[6:7], v[8:9]
	s_branch .LBB0_2
.LBB0_8:
	v_mov_b64_e32 v[8:9], v[6:7]
.LBB0_9:
	s_lshl_b64 s[2:3], s[6:7], 3
	s_add_u32 s2, s10, s2
	s_addc_u32 s3, s11, s3
	s_load_dwordx2 s[6:7], s[2:3], 0x0
	s_load_dwordx2 s[10:11], s[0:1], 0x20
	s_mov_b32 s2, 0x253c826
                                        ; implicit-def: $vgpr38_vgpr39
                                        ; implicit-def: $vgpr22_vgpr23
                                        ; implicit-def: $vgpr6_vgpr7
                                        ; implicit-def: $vgpr30_vgpr31
                                        ; implicit-def: $vgpr14_vgpr15
                                        ; implicit-def: $vgpr26_vgpr27
                                        ; implicit-def: $vgpr10_vgpr11
                                        ; implicit-def: $vgpr34_vgpr35
                                        ; implicit-def: $vgpr18_vgpr19
	s_waitcnt lgkmcnt(0)
	v_mul_lo_u32 v1, s6, v9
	v_mul_lo_u32 v4, s7, v8
	v_mad_u64_u32 v[2:3], s[0:1], s6, v8, v[2:3]
	v_add3_u32 v3, v4, v3, v1
	v_mul_hi_u32 v1, v0, s2
	v_mul_u32_u24_e32 v1, 0x6e, v1
	v_cmp_gt_u64_e64 s[0:1], s[10:11], v[8:9]
	v_sub_u32_e32 v52, v0, v1
	v_lshl_add_u64 v[54:55], v[2:3], 4, s[8:9]
                                        ; implicit-def: $vgpr2_vgpr3
	s_and_saveexec_b64 s[2:3], s[0:1]
	s_cbranch_execz .LBB0_13
; %bb.10:
	v_mov_b32_e32 v53, 0
	v_lshl_add_u64 v[2:3], v[52:53], 4, v[54:55]
	v_add_co_u32_e32 v0, vcc, 0x1000, v2
	global_load_dwordx4 v[16:19], v[2:3], off
	global_load_dwordx4 v[8:11], v[2:3], off offset:1760
	v_addc_co_u32_e32 v1, vcc, 0, v3, vcc
	v_add_co_u32_e32 v36, vcc, 0x2000, v2
	s_nop 1
	v_addc_co_u32_e32 v37, vcc, 0, v3, vcc
	global_load_dwordx4 v[32:35], v[0:1], off offset:3824
	global_load_dwordx4 v[24:27], v[36:37], off offset:1488
	;; [unrolled: 1-line block ×4, first 2 shown]
	v_add_co_u32_e32 v0, vcc, 0x3000, v2
	s_nop 1
	v_addc_co_u32_e32 v1, vcc, 0, v3, vcc
	global_load_dwordx4 v[28:31], v[36:37], off offset:3248
	global_load_dwordx4 v[20:23], v[0:1], off offset:912
	v_cmp_gt_u32_e32 vcc, 55, v52
                                        ; implicit-def: $vgpr0_vgpr1
                                        ; implicit-def: $vgpr36_vgpr37
	s_and_saveexec_b64 s[6:7], vcc
	s_cbranch_execz .LBB0_12
; %bb.11:
	v_add_co_u32_e32 v40, vcc, 0x1000, v2
	s_nop 1
	v_addc_co_u32_e32 v41, vcc, 0, v3, vcc
	v_add_co_u32_e32 v42, vcc, 0x3000, v2
	s_nop 1
	v_addc_co_u32_e32 v43, vcc, 0, v3, vcc
	global_load_dwordx4 v[0:3], v[40:41], off offset:2944
	global_load_dwordx4 v[36:39], v[42:43], off offset:2672
.LBB0_12:
	s_or_b64 exec, exec, s[6:7]
.LBB0_13:
	s_or_b64 exec, exec, s[2:3]
	s_waitcnt vmcnt(5)
	v_add_f64 v[32:33], v[16:17], -v[32:33]
	v_add_f64 v[34:35], v[18:19], -v[34:35]
	s_waitcnt vmcnt(4)
	v_add_f64 v[24:25], v[8:9], -v[24:25]
	v_add_f64 v[26:27], v[10:11], -v[26:27]
	v_add_u32_e32 v41, 0x6e, v52
	v_fma_f64 v[16:17], v[16:17], 2.0, -v[32:33]
	v_fma_f64 v[18:19], v[18:19], 2.0, -v[34:35]
	;; [unrolled: 1-line block ×4, first 2 shown]
	v_lshl_add_u32 v9, v52, 5, 0
	v_lshl_add_u32 v8, v41, 5, 0
	s_waitcnt vmcnt(1)
	v_add_f64 v[28:29], v[12:13], -v[28:29]
	v_add_f64 v[30:31], v[14:15], -v[30:31]
	s_waitcnt vmcnt(0)
	v_add_f64 v[20:21], v[4:5], -v[20:21]
	v_add_f64 v[22:23], v[6:7], -v[22:23]
	ds_write_b128 v9, v[16:19]
	ds_write_b128 v9, v[32:35] offset:16
	ds_write_b128 v8, v[42:45]
	ds_write_b128 v8, v[24:27] offset:16
	v_add_u32_e32 v8, 0xdc, v52
	v_fma_f64 v[10:11], v[12:13], 2.0, -v[28:29]
	v_fma_f64 v[12:13], v[14:15], 2.0, -v[30:31]
	;; [unrolled: 1-line block ×4, first 2 shown]
	v_add_f64 v[4:5], v[0:1], -v[36:37]
	v_add_f64 v[6:7], v[2:3], -v[38:39]
	v_lshl_add_u32 v14, v8, 5, 0
	v_cmp_gt_u32_e32 vcc, 55, v52
	ds_write_b128 v14, v[10:13]
	ds_write_b128 v14, v[28:31] offset:16
	ds_write_b128 v9, v[46:49] offset:10560
	;; [unrolled: 1-line block ×3, first 2 shown]
	s_and_saveexec_b64 s[2:3], vcc
	s_cbranch_execz .LBB0_15
; %bb.14:
	v_fma_f64 v[2:3], v[2:3], 2.0, -v[6:7]
	v_fma_f64 v[0:1], v[0:1], 2.0, -v[4:5]
	ds_write_b128 v9, v[0:3] offset:14080
	ds_write_b128 v9, v[4:7] offset:14096
.LBB0_15:
	s_or_b64 exec, exec, s[2:3]
	v_and_b32_e32 v53, 1, v52
	v_lshlrev_b32_e32 v14, 5, v53
	s_waitcnt lgkmcnt(0)
	s_barrier
	global_load_dwordx4 v[0:3], v14, s[4:5]
	global_load_dwordx4 v[10:13], v14, s[4:5] offset:16
	v_lshlrev_b32_e32 v14, 4, v52
	v_sub_u32_e32 v40, v9, v14
	ds_read_b128 v[14:17], v40
	ds_read_b128 v[18:21], v40 offset:1760
	ds_read_b128 v[22:25], v40 offset:10560
	;; [unrolled: 1-line block ×8, first 2 shown]
	v_lshrrev_b32_e32 v9, 1, v52
	v_mul_u32_u24_e32 v9, 6, v9
	s_mov_b32 s2, 0xe8584caa
	v_or_b32_e32 v9, v9, v53
	s_mov_b32 s3, 0xbfebb67a
	s_mov_b32 s7, 0x3febb67a
	;; [unrolled: 1-line block ×3, first 2 shown]
	v_lshl_add_u32 v9, v9, 4, 0
	s_waitcnt lgkmcnt(0)
	s_barrier
	s_movk_i32 s8, 0xab
	s_waitcnt vmcnt(1)
	v_mul_f64 v[38:39], v[32:33], v[2:3]
	v_mul_f64 v[50:51], v[30:31], v[2:3]
	s_waitcnt vmcnt(0)
	v_mul_f64 v[60:61], v[24:25], v[12:13]
	v_mul_f64 v[62:63], v[22:23], v[12:13]
	v_mul_f64 v[64:65], v[44:45], v[2:3]
	v_mul_f64 v[66:67], v[42:43], v[2:3]
	v_mul_f64 v[68:69], v[28:29], v[12:13]
	v_mul_f64 v[70:71], v[26:27], v[12:13]
	v_mul_f64 v[72:73], v[48:49], v[2:3]
	v_mul_f64 v[2:3], v[46:47], v[2:3]
	v_mul_f64 v[74:75], v[58:59], v[12:13]
	v_mul_f64 v[12:13], v[56:57], v[12:13]
	v_fmac_f64_e32 v[38:39], v[30:31], v[0:1]
	v_fma_f64 v[30:31], v[32:33], v[0:1], -v[50:51]
	v_fmac_f64_e32 v[60:61], v[22:23], v[10:11]
	v_fma_f64 v[22:23], v[24:25], v[10:11], -v[62:63]
	;; [unrolled: 2-line block ×6, first 2 shown]
	v_add_f64 v[2:3], v[14:15], v[38:39]
	v_add_f64 v[10:11], v[38:39], v[60:61]
	v_add_f64 v[32:33], v[30:31], -v[22:23]
	v_add_f64 v[12:13], v[16:17], v[30:31]
	v_add_f64 v[30:31], v[30:31], v[22:23]
	v_add_f64 v[38:39], v[38:39], -v[60:61]
	;; [unrolled: 3-line block ×4, first 2 shown]
	v_add_f64 v[62:63], v[0:1], -v[28:29]
	v_add_f64 v[64:65], v[36:37], v[0:1]
	v_add_f64 v[66:67], v[0:1], v[28:29]
	v_add_f64 v[0:1], v[2:3], v[60:61]
	v_add_f64 v[2:3], v[12:13], v[22:23]
	v_fmac_f64_e32 v[14:15], -0.5, v[10:11]
	v_fmac_f64_e32 v[16:17], -0.5, v[30:31]
	v_add_f64 v[12:13], v[48:49], v[26:27]
	v_fmac_f64_e32 v[20:21], -0.5, v[24:25]
	v_add_f64 v[24:25], v[64:65], v[28:29]
	v_fma_f64 v[26:27], s[2:3], v[32:33], v[14:15]
	v_fmac_f64_e32 v[14:15], s[6:7], v[32:33]
	v_fma_f64 v[28:29], s[6:7], v[38:39], v[16:17]
	v_fmac_f64_e32 v[16:17], s[2:3], v[38:39]
	ds_write_b128 v9, v[0:3]
	ds_write_b128 v9, v[26:29] offset:32
	ds_write_b128 v9, v[14:17] offset:64
	v_lshrrev_b32_e32 v0, 1, v41
	v_mul_u32_u24_e32 v0, 6, v0
	v_or_b32_e32 v0, v0, v53
	v_add_f64 v[10:11], v[42:43], v[68:69]
	v_fmac_f64_e32 v[18:19], -0.5, v[44:45]
	v_lshl_add_u32 v0, v0, 4, 0
	v_fma_f64 v[30:31], s[2:3], v[46:47], v[18:19]
	v_fmac_f64_e32 v[18:19], s[6:7], v[46:47]
	v_fma_f64 v[32:33], s[6:7], v[50:51], v[20:21]
	v_fmac_f64_e32 v[20:21], s[2:3], v[50:51]
	ds_write_b128 v0, v[10:13]
	ds_write_b128 v0, v[30:33] offset:32
	ds_write_b128 v0, v[18:21] offset:64
	v_lshrrev_b32_e32 v0, 1, v8
	v_mul_u32_u24_e32 v0, 6, v0
	v_add_f64 v[56:57], v[34:35], v[72:73]
	v_add_f64 v[58:59], v[72:73], v[74:75]
	v_or_b32_e32 v0, v0, v53
	v_add_f64 v[70:71], v[72:73], -v[74:75]
	v_add_f64 v[22:23], v[56:57], v[74:75]
	v_fmac_f64_e32 v[34:35], -0.5, v[58:59]
	v_fmac_f64_e32 v[36:37], -0.5, v[66:67]
	v_lshl_add_u32 v0, v0, 4, 0
	v_fma_f64 v[42:43], s[2:3], v[62:63], v[34:35]
	v_fmac_f64_e32 v[34:35], s[6:7], v[62:63]
	v_fma_f64 v[44:45], s[6:7], v[70:71], v[36:37]
	v_fmac_f64_e32 v[36:37], s[2:3], v[70:71]
	ds_write_b128 v0, v[22:25]
	ds_write_b128 v0, v[42:45] offset:32
	ds_write_b128 v0, v[34:37] offset:64
	v_mul_lo_u16_sdwa v0, v52, s8 dst_sel:DWORD dst_unused:UNUSED_PAD src0_sel:BYTE_0 src1_sel:DWORD
	v_lshrrev_b16_e32 v53, 10, v0
	v_mul_lo_u16_e32 v0, 6, v53
	v_sub_u16_e32 v82, v52, v0
	v_mov_b32_e32 v0, 5
	v_lshlrev_b32_sdwa v1, v0, v82 dst_sel:DWORD dst_unused:UNUSED_PAD src0_sel:DWORD src1_sel:BYTE_0
	s_waitcnt lgkmcnt(0)
	s_barrier
	global_load_dwordx4 v[16:19], v1, s[4:5] offset:64
	global_load_dwordx4 v[20:23], v1, s[4:5] offset:80
	v_mul_lo_u16_sdwa v1, v41, s8 dst_sel:DWORD dst_unused:UNUSED_PAD src0_sel:BYTE_0 src1_sel:DWORD
	v_lshrrev_b16_e32 v83, 10, v1
	v_mul_lo_u16_e32 v1, 6, v83
	v_sub_u16_e32 v84, v41, v1
	v_lshlrev_b32_sdwa v0, v0, v84 dst_sel:DWORD dst_unused:UNUSED_PAD src0_sel:DWORD src1_sel:BYTE_0
	s_mov_b32 s8, 0xaaab
	global_load_dwordx4 v[24:27], v0, s[4:5] offset:64
	global_load_dwordx4 v[28:31], v0, s[4:5] offset:80
	v_mul_u32_u24_sdwa v0, v8, s8 dst_sel:DWORD dst_unused:UNUSED_PAD src0_sel:WORD_0 src1_sel:DWORD
	v_lshrrev_b32_e32 v85, 18, v0
	v_mul_lo_u16_e32 v0, 6, v85
	v_sub_u16_e32 v86, v8, v0
	v_lshlrev_b32_e32 v0, 5, v86
	global_load_dwordx4 v[8:11], v0, s[4:5] offset:64
	global_load_dwordx4 v[32:35], v0, s[4:5] offset:80
	ds_read_b128 v[36:39], v40 offset:10560
	ds_read_b128 v[42:45], v40 offset:12320
	;; [unrolled: 1-line block ×7, first 2 shown]
	ds_read_b128 v[68:71], v40
	ds_read_b128 v[0:3], v40 offset:1760
	s_waitcnt lgkmcnt(0)
	s_barrier
	s_waitcnt vmcnt(5)
	v_mul_f64 v[50:51], v[48:49], v[18:19]
	s_waitcnt vmcnt(4)
	v_mul_f64 v[72:73], v[38:39], v[22:23]
	v_mul_f64 v[18:19], v[46:47], v[18:19]
	;; [unrolled: 1-line block ×3, first 2 shown]
	v_fmac_f64_e32 v[50:51], v[46:47], v[16:17]
	v_fmac_f64_e32 v[72:73], v[36:37], v[20:21]
	v_fma_f64 v[16:17], v[48:49], v[16:17], -v[18:19]
	v_fma_f64 v[18:19], v[38:39], v[20:21], -v[22:23]
	s_waitcnt vmcnt(3)
	v_mul_f64 v[74:75], v[58:59], v[26:27]
	v_mul_f64 v[26:27], v[56:57], v[26:27]
	v_fmac_f64_e32 v[74:75], v[56:57], v[24:25]
	v_fma_f64 v[20:21], v[58:59], v[24:25], -v[26:27]
	s_waitcnt vmcnt(2)
	v_mul_f64 v[76:77], v[44:45], v[30:31]
	s_waitcnt vmcnt(1)
	v_mul_f64 v[78:79], v[62:63], v[10:11]
	v_mul_f64 v[10:11], v[60:61], v[10:11]
	v_fmac_f64_e32 v[78:79], v[60:61], v[8:9]
	v_fma_f64 v[36:37], v[62:63], v[8:9], -v[10:11]
	s_waitcnt vmcnt(0)
	v_mul_f64 v[8:9], v[64:65], v[34:35]
	v_add_f64 v[10:11], v[50:51], v[72:73]
	v_fma_f64 v[38:39], v[66:67], v[32:33], -v[8:9]
	v_add_f64 v[8:9], v[68:69], v[50:51]
	v_fmac_f64_e32 v[68:69], -0.5, v[10:11]
	v_add_f64 v[10:11], v[16:17], -v[18:19]
	v_fma_f64 v[24:25], s[2:3], v[10:11], v[68:69]
	v_fmac_f64_e32 v[68:69], s[6:7], v[10:11]
	v_add_f64 v[10:11], v[70:71], v[16:17]
	v_add_f64 v[16:17], v[16:17], v[18:19]
	v_fmac_f64_e32 v[70:71], -0.5, v[16:17]
	v_add_f64 v[16:17], v[50:51], -v[72:73]
	v_mul_f64 v[30:31], v[42:43], v[30:31]
	v_fmac_f64_e32 v[76:77], v[42:43], v[28:29]
	v_fma_f64 v[26:27], s[6:7], v[16:17], v[70:71]
	v_fmac_f64_e32 v[70:71], s[2:3], v[16:17]
	v_add_f64 v[16:17], v[0:1], v[74:75]
	v_fma_f64 v[22:23], v[44:45], v[28:29], -v[30:31]
	v_add_f64 v[28:29], v[16:17], v[76:77]
	v_add_f64 v[16:17], v[74:75], v[76:77]
	v_mul_f64 v[80:81], v[66:67], v[34:35]
	v_fmac_f64_e32 v[0:1], -0.5, v[16:17]
	v_add_f64 v[16:17], v[20:21], -v[22:23]
	v_fmac_f64_e32 v[80:81], v[64:65], v[32:33]
	v_fma_f64 v[32:33], s[2:3], v[16:17], v[0:1]
	v_fmac_f64_e32 v[0:1], s[6:7], v[16:17]
	v_add_f64 v[16:17], v[2:3], v[20:21]
	v_add_f64 v[30:31], v[16:17], v[22:23]
	v_add_f64 v[16:17], v[20:21], v[22:23]
	v_add_f64 v[10:11], v[10:11], v[18:19]
	v_fmac_f64_e32 v[2:3], -0.5, v[16:17]
	v_add_f64 v[16:17], v[74:75], -v[76:77]
	v_add_f64 v[18:19], v[78:79], v[80:81]
	v_fma_f64 v[34:35], s[6:7], v[16:17], v[2:3]
	v_fmac_f64_e32 v[2:3], s[2:3], v[16:17]
	v_add_f64 v[16:17], v[12:13], v[78:79]
	v_fmac_f64_e32 v[12:13], -0.5, v[18:19]
	v_add_f64 v[18:19], v[36:37], -v[38:39]
	v_add_f64 v[22:23], v[36:37], v[38:39]
	v_fma_f64 v[20:21], s[2:3], v[18:19], v[12:13]
	v_fmac_f64_e32 v[12:13], s[6:7], v[18:19]
	v_add_f64 v[18:19], v[14:15], v[36:37]
	v_fmac_f64_e32 v[14:15], -0.5, v[22:23]
	v_add_f64 v[36:37], v[78:79], -v[80:81]
	v_mov_b32_e32 v42, 4
	v_fma_f64 v[22:23], s[6:7], v[36:37], v[14:15]
	v_fmac_f64_e32 v[14:15], s[2:3], v[36:37]
	v_mul_u32_u24_e32 v36, 0x120, v53
	v_lshlrev_b32_sdwa v37, v42, v82 dst_sel:DWORD dst_unused:UNUSED_PAD src0_sel:DWORD src1_sel:BYTE_0
	v_add_f64 v[8:9], v[8:9], v[72:73]
	v_add3_u32 v36, 0, v36, v37
	ds_write_b128 v36, v[8:11]
	ds_write_b128 v36, v[24:27] offset:96
	ds_write_b128 v36, v[68:71] offset:192
	v_mul_u32_u24_e32 v8, 0x120, v83
	v_lshlrev_b32_sdwa v9, v42, v84 dst_sel:DWORD dst_unused:UNUSED_PAD src0_sel:DWORD src1_sel:BYTE_0
	v_add3_u32 v8, 0, v8, v9
	ds_write_b128 v8, v[28:31]
	ds_write_b128 v8, v[32:35] offset:96
	ds_write_b128 v8, v[0:3] offset:192
	v_mul_u32_u24_e32 v8, 0x120, v85
	v_lshlrev_b32_e32 v9, 4, v86
	v_add_f64 v[16:17], v[16:17], v[80:81]
	v_add_f64 v[18:19], v[18:19], v[38:39]
	v_add3_u32 v8, 0, v8, v9
	ds_write_b128 v8, v[16:19]
	ds_write_b128 v8, v[20:23] offset:96
	ds_write_b128 v8, v[12:15] offset:192
	s_waitcnt lgkmcnt(0)
	s_barrier
	ds_read_b128 v[8:11], v40
	ds_read_b128 v[36:39], v40 offset:3168
	ds_read_b128 v[32:35], v40 offset:6336
	;; [unrolled: 1-line block ×4, first 2 shown]
	s_movk_i32 s2, 0x58
	v_cmp_gt_u32_e32 vcc, s2, v52
	s_and_saveexec_b64 s[2:3], vcc
	s_cbranch_execz .LBB0_17
; %bb.16:
	ds_read_b128 v[0:3], v40 offset:1760
	ds_read_b128 v[16:19], v40 offset:4928
	;; [unrolled: 1-line block ×5, first 2 shown]
.LBB0_17:
	s_or_b64 exec, exec, s[2:3]
	v_mov_b32_e32 v43, 57
	v_mul_lo_u16_sdwa v44, v52, v43 dst_sel:DWORD dst_unused:UNUSED_PAD src0_sel:BYTE_0 src1_sel:DWORD
	v_lshrrev_b16_e32 v53, 10, v44
	v_mul_lo_u16_e32 v44, 18, v53
	v_sub_u16_e32 v96, v52, v44
	v_mov_b32_e32 v64, 6
	v_mul_lo_u16_sdwa v43, v41, v43 dst_sel:DWORD dst_unused:UNUSED_PAD src0_sel:BYTE_0 src1_sel:DWORD
	v_lshlrev_b32_sdwa v65, v64, v96 dst_sel:DWORD dst_unused:UNUSED_PAD src0_sel:DWORD src1_sel:BYTE_0
	v_lshrrev_b16_e32 v43, 10, v43
	global_load_dwordx4 v[44:47], v65, s[4:5] offset:256
	global_load_dwordx4 v[48:51], v65, s[4:5] offset:272
	;; [unrolled: 1-line block ×4, first 2 shown]
	v_mul_lo_u16_e32 v65, 18, v43
	v_sub_u16_e32 v41, v41, v65
	v_lshlrev_b32_sdwa v80, v64, v41 dst_sel:DWORD dst_unused:UNUSED_PAD src0_sel:DWORD src1_sel:BYTE_0
	global_load_dwordx4 v[64:67], v80, s[4:5] offset:256
	global_load_dwordx4 v[68:71], v80, s[4:5] offset:272
	;; [unrolled: 1-line block ×4, first 2 shown]
	s_mov_b32 s6, 0x134454ff
	s_mov_b32 s7, 0xbfee6f0e
	;; [unrolled: 1-line block ×10, first 2 shown]
	v_lshlrev_b32_sdwa v42, v42, v96 dst_sel:DWORD dst_unused:UNUSED_PAD src0_sel:DWORD src1_sel:BYTE_0
	s_waitcnt lgkmcnt(0)
	s_barrier
	s_waitcnt vmcnt(7)
	v_mul_f64 v[80:81], v[38:39], v[46:47]
	s_waitcnt vmcnt(6)
	v_mul_f64 v[82:83], v[34:35], v[50:51]
	;; [unrolled: 2-line block ×4, first 2 shown]
	v_mul_f64 v[46:47], v[36:37], v[46:47]
	v_mul_f64 v[50:51], v[32:33], v[50:51]
	;; [unrolled: 1-line block ×4, first 2 shown]
	s_waitcnt vmcnt(2)
	v_mul_f64 v[90:91], v[22:23], v[70:71]
	v_mul_f64 v[70:71], v[20:21], v[70:71]
	s_waitcnt vmcnt(0)
	v_mul_f64 v[94:95], v[6:7], v[78:79]
	v_mul_f64 v[78:79], v[4:5], v[78:79]
	v_fmac_f64_e32 v[80:81], v[36:37], v[44:45]
	v_fmac_f64_e32 v[82:83], v[32:33], v[48:49]
	;; [unrolled: 1-line block ×4, first 2 shown]
	v_mul_f64 v[88:89], v[18:19], v[66:67]
	v_mul_f64 v[66:67], v[16:17], v[66:67]
	;; [unrolled: 1-line block ×4, first 2 shown]
	v_fma_f64 v[36:37], v[38:39], v[44:45], -v[46:47]
	v_fma_f64 v[32:33], v[34:35], v[48:49], -v[50:51]
	;; [unrolled: 1-line block ×6, first 2 shown]
	v_add_f64 v[6:7], v[82:83], v[84:85]
	v_add_f64 v[22:23], v[80:81], v[86:87]
	v_fmac_f64_e32 v[88:89], v[16:17], v[64:65]
	v_fma_f64 v[44:45], v[18:19], v[64:65], -v[66:67]
	v_fmac_f64_e32 v[90:91], v[20:21], v[68:69]
	v_fmac_f64_e32 v[92:93], v[12:13], v[72:73]
	v_fma_f64 v[48:49], v[14:15], v[72:73], -v[74:75]
	v_fmac_f64_e32 v[94:95], v[4:5], v[76:77]
	v_add_f64 v[4:5], v[8:9], v[80:81]
	v_add_f64 v[14:15], v[36:37], -v[24:25]
	v_add_f64 v[18:19], v[32:33], -v[28:29]
	v_add_f64 v[12:13], v[80:81], -v[82:83]
	v_add_f64 v[16:17], v[86:87], -v[84:85]
	v_add_f64 v[26:27], v[82:83], -v[80:81]
	v_add_f64 v[30:31], v[84:85], -v[86:87]
	v_add_f64 v[34:35], v[10:11], v[36:37]
	v_fma_f64 v[20:21], -0.5, v[6:7], v[8:9]
	v_fmac_f64_e32 v[8:9], -0.5, v[22:23]
	v_add_f64 v[6:7], v[12:13], v[16:17]
	v_add_f64 v[22:23], v[26:27], v[30:31]
	;; [unrolled: 1-line block ×3, first 2 shown]
	v_fma_f64 v[12:13], s[6:7], v[14:15], v[20:21]
	v_fmac_f64_e32 v[20:21], s[8:9], v[14:15]
	v_fma_f64 v[16:17], s[8:9], v[18:19], v[8:9]
	v_fmac_f64_e32 v[8:9], s[6:7], v[18:19]
	v_add_f64 v[26:27], v[26:27], v[28:29]
	v_fmac_f64_e32 v[12:13], s[2:3], v[18:19]
	v_fmac_f64_e32 v[20:21], s[10:11], v[18:19]
	;; [unrolled: 1-line block ×4, first 2 shown]
	v_add_f64 v[14:15], v[32:33], v[28:29]
	v_fmac_f64_e32 v[12:13], s[12:13], v[6:7]
	v_fmac_f64_e32 v[20:21], s[12:13], v[6:7]
	;; [unrolled: 1-line block ×4, first 2 shown]
	v_add_f64 v[6:7], v[26:27], v[24:25]
	v_fma_f64 v[22:23], -0.5, v[14:15], v[10:11]
	v_add_f64 v[26:27], v[80:81], -v[86:87]
	v_fma_f64 v[14:15], s[8:9], v[26:27], v[22:23]
	v_add_f64 v[30:31], v[82:83], -v[84:85]
	v_add_f64 v[18:19], v[36:37], -v[32:33]
	;; [unrolled: 1-line block ×3, first 2 shown]
	v_fmac_f64_e32 v[22:23], s[6:7], v[26:27]
	v_fmac_f64_e32 v[14:15], s[10:11], v[30:31]
	v_add_f64 v[18:19], v[18:19], v[34:35]
	v_fmac_f64_e32 v[22:23], s[2:3], v[30:31]
	v_fmac_f64_e32 v[14:15], s[12:13], v[18:19]
	;; [unrolled: 1-line block ×3, first 2 shown]
	v_add_f64 v[18:19], v[36:37], v[24:25]
	v_fmac_f64_e32 v[10:11], -0.5, v[18:19]
	v_fma_f64 v[18:19], s[6:7], v[30:31], v[10:11]
	v_add_f64 v[32:33], v[32:33], -v[36:37]
	v_add_f64 v[24:25], v[28:29], -v[24:25]
	v_fmac_f64_e32 v[10:11], s[8:9], v[30:31]
	v_fmac_f64_e32 v[18:19], s[10:11], v[26:27]
	v_add_f64 v[24:25], v[32:33], v[24:25]
	v_fmac_f64_e32 v[10:11], s[2:3], v[26:27]
	v_fmac_f64_e32 v[18:19], s[12:13], v[24:25]
	;; [unrolled: 1-line block ×3, first 2 shown]
	v_add_f64 v[24:25], v[0:1], v[88:89]
	v_add_f64 v[24:25], v[24:25], v[90:91]
	;; [unrolled: 1-line block ×4, first 2 shown]
	v_fma_f64 v[28:29], -0.5, v[24:25], v[0:1]
	v_add_f64 v[30:31], v[44:45], -v[50:51]
	v_fma_f64 v[24:25], s[6:7], v[30:31], v[28:29]
	v_add_f64 v[32:33], v[46:47], -v[48:49]
	v_add_f64 v[34:35], v[88:89], -v[90:91]
	;; [unrolled: 1-line block ×3, first 2 shown]
	v_fmac_f64_e32 v[28:29], s[8:9], v[30:31]
	v_fmac_f64_e32 v[24:25], s[2:3], v[32:33]
	v_add_f64 v[34:35], v[34:35], v[36:37]
	v_fmac_f64_e32 v[28:29], s[10:11], v[32:33]
	v_fmac_f64_e32 v[24:25], s[12:13], v[34:35]
	;; [unrolled: 1-line block ×3, first 2 shown]
	v_add_f64 v[34:35], v[88:89], v[94:95]
	v_fmac_f64_e32 v[0:1], -0.5, v[34:35]
	v_add_f64 v[34:35], v[90:91], -v[88:89]
	v_add_f64 v[36:37], v[92:93], -v[94:95]
	v_add_f64 v[34:35], v[34:35], v[36:37]
	v_fma_f64 v[36:37], s[8:9], v[32:33], v[0:1]
	v_fmac_f64_e32 v[0:1], s[6:7], v[32:33]
	v_add_f64 v[32:33], v[26:27], v[94:95]
	v_add_f64 v[26:27], v[2:3], v[44:45]
	;; [unrolled: 1-line block ×3, first 2 shown]
	v_fmac_f64_e32 v[36:37], s[2:3], v[30:31]
	v_fmac_f64_e32 v[0:1], s[10:11], v[30:31]
	v_add_f64 v[26:27], v[26:27], v[48:49]
	v_fmac_f64_e32 v[36:37], s[12:13], v[34:35]
	v_fmac_f64_e32 v[0:1], s[12:13], v[34:35]
	v_add_f64 v[34:35], v[26:27], v[50:51]
	v_add_f64 v[26:27], v[46:47], v[48:49]
	v_fma_f64 v[30:31], -0.5, v[26:27], v[2:3]
	v_add_f64 v[56:57], v[88:89], -v[94:95]
	v_fma_f64 v[26:27], s[8:9], v[56:57], v[30:31]
	v_add_f64 v[58:59], v[90:91], -v[92:93]
	v_add_f64 v[38:39], v[44:45], -v[46:47]
	;; [unrolled: 1-line block ×3, first 2 shown]
	v_fmac_f64_e32 v[30:31], s[6:7], v[56:57]
	v_fmac_f64_e32 v[26:27], s[10:11], v[58:59]
	v_add_f64 v[38:39], v[38:39], v[60:61]
	v_fmac_f64_e32 v[30:31], s[2:3], v[58:59]
	v_fmac_f64_e32 v[26:27], s[12:13], v[38:39]
	;; [unrolled: 1-line block ×3, first 2 shown]
	v_add_f64 v[38:39], v[44:45], v[50:51]
	v_fmac_f64_e32 v[2:3], -0.5, v[38:39]
	v_fma_f64 v[38:39], s[6:7], v[58:59], v[2:3]
	v_add_f64 v[44:45], v[46:47], -v[44:45]
	v_add_f64 v[46:47], v[48:49], -v[50:51]
	v_fmac_f64_e32 v[2:3], s[8:9], v[58:59]
	v_add_f64 v[4:5], v[4:5], v[82:83]
	v_fmac_f64_e32 v[38:39], s[10:11], v[56:57]
	v_add_f64 v[44:45], v[44:45], v[46:47]
	;; [unrolled: 2-line block ×3, first 2 shown]
	v_fmac_f64_e32 v[38:39], s[12:13], v[44:45]
	v_fmac_f64_e32 v[2:3], s[12:13], v[44:45]
	v_mul_u32_u24_e32 v44, 0x5a0, v53
	v_add_f64 v[4:5], v[4:5], v[86:87]
	v_add3_u32 v42, 0, v44, v42
	ds_write_b128 v42, v[4:7]
	ds_write_b128 v42, v[12:15] offset:288
	ds_write_b128 v42, v[16:19] offset:576
	;; [unrolled: 1-line block ×4, first 2 shown]
	s_and_saveexec_b64 s[2:3], vcc
	s_cbranch_execz .LBB0_19
; %bb.18:
	v_mul_u32_u24_e32 v42, 0x5a0, v43
	v_mov_b32_e32 v43, 4
	v_lshlrev_b32_sdwa v41, v43, v41 dst_sel:DWORD dst_unused:UNUSED_PAD src0_sel:DWORD src1_sel:BYTE_0
	v_add3_u32 v41, 0, v42, v41
	ds_write_b128 v41, v[32:35]
	ds_write_b128 v41, v[24:27] offset:288
	ds_write_b128 v41, v[36:39] offset:576
	;; [unrolled: 1-line block ×4, first 2 shown]
.LBB0_19:
	s_or_b64 exec, exec, s[2:3]
	s_movk_i32 s2, 0x5a
	v_cmp_gt_u32_e32 vcc, s2, v52
	s_waitcnt lgkmcnt(0)
	s_barrier
	s_waitcnt lgkmcnt(0)
                                        ; implicit-def: $vgpr42_vgpr43
	s_and_saveexec_b64 s[2:3], vcc
	s_cbranch_execnz .LBB0_22
; %bb.20:
	s_or_b64 exec, exec, s[2:3]
	s_and_b64 s[0:1], s[0:1], vcc
	s_and_saveexec_b64 s[2:3], s[0:1]
	s_cbranch_execnz .LBB0_23
.LBB0_21:
	s_endpgm
.LBB0_22:
	ds_read_b128 v[4:7], v40
	ds_read_b128 v[12:15], v40 offset:1440
	ds_read_b128 v[16:19], v40 offset:2880
	;; [unrolled: 1-line block ×10, first 2 shown]
	s_or_b64 exec, exec, s[2:3]
	s_and_b64 s[0:1], s[0:1], vcc
	s_and_saveexec_b64 s[2:3], s[0:1]
	s_cbranch_execz .LBB0_21
.LBB0_23:
	v_mul_u32_u24_e32 v44, 10, v52
	v_lshlrev_b32_e32 v53, 4, v44
	global_load_dwordx4 v[48:51], v53, s[4:5] offset:1472
	global_load_dwordx4 v[44:47], v53, s[4:5] offset:1488
	;; [unrolled: 1-line block ×10, first 2 shown]
	s_mov_b32 s8, 0xfd768dbf
	s_mov_b32 s12, 0xf8bb580b
	;; [unrolled: 1-line block ×26, first 2 shown]
	v_mov_b32_e32 v53, 0
	s_waitcnt vmcnt(9) lgkmcnt(5)
	v_mul_f64 v[56:57], v[34:35], v[50:51]
	v_mul_f64 v[104:105], v[32:33], v[50:51]
	s_waitcnt vmcnt(8) lgkmcnt(4)
	v_mul_f64 v[50:51], v[26:27], v[46:47]
	v_mul_f64 v[106:107], v[24:25], v[46:47]
	s_waitcnt vmcnt(7)
	v_mul_f64 v[58:59], v[22:23], v[74:75]
	v_mul_f64 v[74:75], v[20:21], v[74:75]
	s_waitcnt vmcnt(3)
	;; [unrolled: 3-line block ×3, first 2 shown]
	v_mul_f64 v[70:71], v[14:15], v[98:99]
	s_waitcnt vmcnt(0) lgkmcnt(0)
	v_mul_f64 v[66:67], v[42:43], v[102:103]
	v_mul_f64 v[64:65], v[30:31], v[94:95]
	;; [unrolled: 1-line block ×5, first 2 shown]
	v_fmac_f64_e32 v[70:71], v[12:13], v[96:97]
	v_fmac_f64_e32 v[66:67], v[40:41], v[100:101]
	v_mul_f64 v[46:47], v[38:39], v[78:79]
	v_mul_f64 v[78:79], v[36:37], v[78:79]
	v_mul_f64 v[62:63], v[10:11], v[82:83]
	v_mul_f64 v[82:83], v[8:9], v[82:83]
	v_mul_f64 v[60:61], v[2:3], v[86:87]
	v_fmac_f64_e32 v[50:51], v[24:25], v[44:45]
	v_fma_f64 v[24:25], v[26:27], v[44:45], -v[106:107]
	v_fmac_f64_e32 v[68:69], v[16:17], v[88:89]
	v_fma_f64 v[44:45], v[18:19], v[88:89], -v[90:91]
	;; [unrolled: 2-line block ×3, first 2 shown]
	v_fma_f64 v[40:41], v[14:15], v[96:97], -v[98:99]
	v_fma_f64 v[30:31], v[42:43], v[100:101], -v[102:103]
	v_add_f64 v[90:91], v[70:71], -v[66:67]
	v_mul_f64 v[86:87], v[0:1], v[86:87]
	v_fmac_f64_e32 v[56:57], v[32:33], v[48:49]
	v_fma_f64 v[32:33], v[34:35], v[48:49], -v[104:105]
	v_fmac_f64_e32 v[58:59], v[20:21], v[72:73]
	v_fma_f64 v[34:35], v[22:23], v[72:73], -v[74:75]
	v_fma_f64 v[26:27], v[38:39], v[76:77], -v[78:79]
	v_fmac_f64_e32 v[62:63], v[8:9], v[80:81]
	v_fma_f64 v[38:39], v[10:11], v[80:81], -v[82:83]
	v_fmac_f64_e32 v[60:61], v[0:1], v[84:85]
	v_add_f64 v[88:89], v[68:69], -v[64:65]
	v_add_f64 v[72:73], v[40:41], v[30:31]
	v_mul_f64 v[10:11], v[90:91], s[8:9]
	v_fmac_f64_e32 v[46:47], v[36:37], v[76:77]
	v_fma_f64 v[36:37], v[2:3], v[84:85], -v[86:87]
	v_add_f64 v[82:83], v[62:63], -v[60:61]
	v_add_f64 v[48:49], v[44:45], v[28:29]
	v_mul_f64 v[8:9], v[88:89], s[12:13]
	v_fma_f64 v[2:3], s[6:7], v[72:73], v[10:11]
	v_add_f64 v[42:43], v[38:39], v[36:37]
	v_add_f64 v[84:85], v[58:59], -v[46:47]
	v_add_f64 v[92:93], v[40:41], -v[30:31]
	v_mul_f64 v[12:13], v[82:83], s[4:5]
	v_fma_f64 v[0:1], s[2:3], v[48:49], v[8:9]
	v_add_f64 v[2:3], v[6:7], v[2:3]
	v_add_f64 v[74:75], v[34:35], v[26:27]
	;; [unrolled: 1-line block ×3, first 2 shown]
	v_mul_f64 v[14:15], v[84:85], s[14:15]
	v_mul_f64 v[16:17], v[92:93], s[8:9]
	v_fma_f64 v[18:19], s[0:1], v[42:43], v[12:13]
	v_add_f64 v[0:1], v[0:1], v[2:3]
	v_add_f64 v[102:103], v[44:45], -v[28:29]
	v_fma_f64 v[20:21], s[10:11], v[74:75], v[14:15]
	v_add_f64 v[0:1], v[18:19], v[0:1]
	v_fma_f64 v[2:3], v[76:77], s[6:7], -v[16:17]
	v_add_f64 v[78:79], v[68:69], v[64:65]
	v_mul_f64 v[18:19], v[102:103], s[12:13]
	v_fma_f64 v[10:11], v[72:73], s[6:7], -v[10:11]
	v_add_f64 v[0:1], v[20:21], v[0:1]
	v_add_f64 v[2:3], v[4:5], v[2:3]
	v_fma_f64 v[20:21], v[78:79], s[2:3], -v[18:19]
	v_add_f64 v[98:99], v[38:39], -v[36:37]
	v_fma_f64 v[8:9], v[48:49], s[2:3], -v[8:9]
	v_add_f64 v[10:11], v[6:7], v[10:11]
	v_add_f64 v[2:3], v[20:21], v[2:3]
	;; [unrolled: 1-line block ×3, first 2 shown]
	v_mul_f64 v[20:21], v[98:99], s[4:5]
	v_add_f64 v[8:9], v[8:9], v[10:11]
	v_fma_f64 v[10:11], v[42:43], s[0:1], -v[12:13]
	v_fma_f64 v[22:23], v[80:81], s[0:1], -v[20:21]
	v_add_f64 v[100:101], v[34:35], -v[26:27]
	v_add_f64 v[8:9], v[10:11], v[8:9]
	v_fma_f64 v[10:11], v[74:75], s[10:11], -v[14:15]
	v_fmac_f64_e32 v[16:17], s[6:7], v[76:77]
	v_add_f64 v[2:3], v[22:23], v[2:3]
	v_add_f64 v[86:87], v[58:59], v[46:47]
	v_mul_f64 v[22:23], v[100:101], s[14:15]
	v_add_f64 v[104:105], v[56:57], -v[50:51]
	v_add_f64 v[8:9], v[10:11], v[8:9]
	v_fmac_f64_e32 v[18:19], s[2:3], v[78:79]
	v_add_f64 v[10:11], v[4:5], v[16:17]
	v_fma_f64 v[94:95], v[86:87], s[10:11], -v[22:23]
	v_mul_f64 v[110:111], v[104:105], s[18:19]
	v_add_f64 v[96:97], v[32:33], v[24:25]
	v_add_f64 v[106:107], v[32:33], -v[24:25]
	v_add_f64 v[10:11], v[18:19], v[10:11]
	v_fmac_f64_e32 v[20:21], s[0:1], v[80:81]
	v_add_f64 v[108:109], v[94:95], v[2:3]
	v_fma_f64 v[2:3], s[16:17], v[96:97], v[110:111]
	v_add_f64 v[94:95], v[56:57], v[50:51]
	v_mul_f64 v[112:113], v[106:107], s[18:19]
	v_add_f64 v[10:11], v[20:21], v[10:11]
	v_fmac_f64_e32 v[22:23], s[10:11], v[86:87]
	v_add_f64 v[2:3], v[2:3], v[0:1]
	v_fma_f64 v[0:1], v[94:95], s[16:17], -v[112:113]
	v_add_f64 v[12:13], v[22:23], v[10:11]
	v_fma_f64 v[10:11], v[96:97], s[16:17], -v[110:111]
	v_fmac_f64_e32 v[112:113], s[16:17], v[94:95]
	v_mul_f64 v[16:17], v[90:91], s[4:5]
	v_add_f64 v[10:11], v[10:11], v[8:9]
	v_add_f64 v[8:9], v[112:113], v[12:13]
	v_fma_f64 v[12:13], s[0:1], v[72:73], v[16:17]
	v_mul_f64 v[18:19], v[88:89], s[22:23]
	v_add_f64 v[12:13], v[6:7], v[12:13]
	v_fma_f64 v[14:15], s[16:17], v[48:49], v[18:19]
	v_mul_f64 v[20:21], v[82:83], s[20:21]
	;; [unrolled: 3-line block ×3, first 2 shown]
	v_add_f64 v[0:1], v[0:1], v[108:109]
	v_add_f64 v[12:13], v[14:15], v[12:13]
	v_fma_f64 v[14:15], s[6:7], v[74:75], v[22:23]
	v_mul_f64 v[108:109], v[92:93], s[4:5]
	v_add_f64 v[12:13], v[14:15], v[12:13]
	v_fma_f64 v[14:15], v[76:77], s[0:1], -v[108:109]
	v_mul_f64 v[110:111], v[102:103], s[22:23]
	v_fma_f64 v[16:17], v[72:73], s[0:1], -v[16:17]
	v_add_f64 v[14:15], v[4:5], v[14:15]
	v_fma_f64 v[112:113], v[78:79], s[16:17], -v[110:111]
	v_fma_f64 v[18:19], v[48:49], s[16:17], -v[18:19]
	v_add_f64 v[16:17], v[6:7], v[16:17]
	v_add_f64 v[14:15], v[112:113], v[14:15]
	v_mul_f64 v[112:113], v[98:99], s[20:21]
	v_add_f64 v[16:17], v[18:19], v[16:17]
	v_fma_f64 v[18:19], v[42:43], s[2:3], -v[20:21]
	v_fma_f64 v[114:115], v[80:81], s[2:3], -v[112:113]
	v_add_f64 v[16:17], v[18:19], v[16:17]
	v_fma_f64 v[18:19], v[74:75], s[6:7], -v[22:23]
	v_fmac_f64_e32 v[108:109], s[0:1], v[76:77]
	v_add_f64 v[14:15], v[114:115], v[14:15]
	v_mul_f64 v[114:115], v[100:101], s[8:9]
	v_add_f64 v[16:17], v[18:19], v[16:17]
	v_fmac_f64_e32 v[110:111], s[16:17], v[78:79]
	v_add_f64 v[18:19], v[4:5], v[108:109]
	v_fma_f64 v[116:117], v[86:87], s[6:7], -v[114:115]
	v_mul_f64 v[118:119], v[104:105], s[14:15]
	v_add_f64 v[18:19], v[110:111], v[18:19]
	v_fmac_f64_e32 v[112:113], s[2:3], v[80:81]
	v_add_f64 v[116:117], v[116:117], v[14:15]
	v_fma_f64 v[14:15], s[10:11], v[96:97], v[118:119]
	v_mul_f64 v[120:121], v[106:107], s[14:15]
	v_add_f64 v[18:19], v[112:113], v[18:19]
	v_fmac_f64_e32 v[114:115], s[6:7], v[86:87]
	v_add_f64 v[14:15], v[14:15], v[12:13]
	v_fma_f64 v[12:13], v[94:95], s[10:11], -v[120:121]
	v_add_f64 v[20:21], v[114:115], v[18:19]
	v_fma_f64 v[18:19], v[96:97], s[10:11], -v[118:119]
	v_fmac_f64_e32 v[120:121], s[10:11], v[94:95]
	v_mul_f64 v[108:109], v[90:91], s[18:19]
	v_add_f64 v[18:19], v[18:19], v[16:17]
	v_add_f64 v[16:17], v[120:121], v[20:21]
	v_fma_f64 v[20:21], s[16:17], v[72:73], v[108:109]
	v_mul_f64 v[110:111], v[88:89], s[24:25]
	v_add_f64 v[20:21], v[6:7], v[20:21]
	v_fma_f64 v[22:23], s[6:7], v[48:49], v[110:111]
	v_mul_f64 v[112:113], v[82:83], s[14:15]
	;; [unrolled: 3-line block ×3, first 2 shown]
	v_add_f64 v[12:13], v[12:13], v[116:117]
	v_add_f64 v[20:21], v[22:23], v[20:21]
	v_fma_f64 v[22:23], s[2:3], v[74:75], v[114:115]
	v_mul_f64 v[116:117], v[92:93], s[18:19]
	v_add_f64 v[20:21], v[22:23], v[20:21]
	v_fma_f64 v[22:23], v[76:77], s[16:17], -v[116:117]
	v_mul_f64 v[118:119], v[102:103], s[24:25]
	v_fma_f64 v[108:109], v[72:73], s[16:17], -v[108:109]
	v_add_f64 v[22:23], v[4:5], v[22:23]
	v_fma_f64 v[120:121], v[78:79], s[6:7], -v[118:119]
	v_fma_f64 v[110:111], v[48:49], s[6:7], -v[110:111]
	v_add_f64 v[108:109], v[6:7], v[108:109]
	v_add_f64 v[22:23], v[120:121], v[22:23]
	v_mul_f64 v[120:121], v[98:99], s[14:15]
	v_add_f64 v[108:109], v[110:111], v[108:109]
	v_fma_f64 v[110:111], v[42:43], s[10:11], -v[112:113]
	v_fma_f64 v[122:123], v[80:81], s[10:11], -v[120:121]
	v_add_f64 v[108:109], v[110:111], v[108:109]
	v_fma_f64 v[110:111], v[74:75], s[2:3], -v[114:115]
	v_fmac_f64_e32 v[116:117], s[16:17], v[76:77]
	v_add_f64 v[22:23], v[122:123], v[22:23]
	v_mul_f64 v[122:123], v[100:101], s[20:21]
	v_add_f64 v[108:109], v[110:111], v[108:109]
	v_fmac_f64_e32 v[118:119], s[6:7], v[78:79]
	v_add_f64 v[110:111], v[4:5], v[116:117]
	v_fma_f64 v[124:125], v[86:87], s[2:3], -v[122:123]
	v_mul_f64 v[126:127], v[104:105], s[4:5]
	v_add_f64 v[110:111], v[118:119], v[110:111]
	v_fmac_f64_e32 v[120:121], s[10:11], v[80:81]
	v_add_f64 v[124:125], v[124:125], v[22:23]
	v_fma_f64 v[22:23], s[0:1], v[96:97], v[126:127]
	v_mul_f64 v[128:129], v[106:107], s[4:5]
	v_add_f64 v[110:111], v[120:121], v[110:111]
	v_fmac_f64_e32 v[122:123], s[2:3], v[86:87]
	s_mov_b32 s15, 0xbfed1bb4
	v_add_f64 v[22:23], v[22:23], v[20:21]
	v_fma_f64 v[20:21], v[94:95], s[0:1], -v[128:129]
	v_add_f64 v[112:113], v[122:123], v[110:111]
	v_fma_f64 v[110:111], v[96:97], s[0:1], -v[126:127]
	v_fmac_f64_e32 v[128:129], s[0:1], v[94:95]
	v_mul_f64 v[116:117], v[90:91], s[14:15]
	v_add_f64 v[110:111], v[110:111], v[108:109]
	v_add_f64 v[108:109], v[128:129], v[112:113]
	v_fma_f64 v[112:113], s[10:11], v[72:73], v[116:117]
	v_mul_f64 v[118:119], v[88:89], s[4:5]
	v_add_f64 v[112:113], v[6:7], v[112:113]
	v_fma_f64 v[114:115], s[0:1], v[48:49], v[118:119]
	v_mul_f64 v[120:121], v[82:83], s[24:25]
	;; [unrolled: 3-line block ×3, first 2 shown]
	v_add_f64 v[20:21], v[20:21], v[124:125]
	v_add_f64 v[112:113], v[114:115], v[112:113]
	v_fma_f64 v[114:115], s[16:17], v[74:75], v[122:123]
	v_mul_f64 v[124:125], v[92:93], s[14:15]
	v_add_f64 v[112:113], v[114:115], v[112:113]
	v_fma_f64 v[114:115], v[76:77], s[10:11], -v[124:125]
	v_mul_f64 v[126:127], v[102:103], s[4:5]
	v_fma_f64 v[116:117], v[72:73], s[10:11], -v[116:117]
	v_add_f64 v[114:115], v[4:5], v[114:115]
	v_fma_f64 v[128:129], v[78:79], s[0:1], -v[126:127]
	v_fma_f64 v[118:119], v[48:49], s[0:1], -v[118:119]
	v_add_f64 v[116:117], v[6:7], v[116:117]
	v_add_f64 v[114:115], v[128:129], v[114:115]
	v_mul_f64 v[128:129], v[98:99], s[24:25]
	v_add_f64 v[116:117], v[118:119], v[116:117]
	v_fma_f64 v[118:119], v[42:43], s[6:7], -v[120:121]
	v_fma_f64 v[130:131], v[80:81], s[6:7], -v[128:129]
	v_add_f64 v[116:117], v[118:119], v[116:117]
	v_fma_f64 v[118:119], v[74:75], s[16:17], -v[122:123]
	v_fmac_f64_e32 v[124:125], s[10:11], v[76:77]
	v_add_f64 v[114:115], v[130:131], v[114:115]
	v_mul_f64 v[130:131], v[100:101], s[22:23]
	v_add_f64 v[116:117], v[118:119], v[116:117]
	v_fmac_f64_e32 v[126:127], s[0:1], v[78:79]
	v_add_f64 v[118:119], v[4:5], v[124:125]
	v_fma_f64 v[132:133], v[86:87], s[16:17], -v[130:131]
	v_mul_f64 v[134:135], v[104:105], s[12:13]
	v_add_f64 v[118:119], v[126:127], v[118:119]
	v_fmac_f64_e32 v[128:129], s[6:7], v[80:81]
	v_add_f64 v[132:133], v[132:133], v[114:115]
	v_fma_f64 v[114:115], s[2:3], v[96:97], v[134:135]
	v_mul_f64 v[136:137], v[106:107], s[12:13]
	v_add_f64 v[118:119], v[128:129], v[118:119]
	v_fmac_f64_e32 v[130:131], s[16:17], v[86:87]
	v_add_f64 v[114:115], v[114:115], v[112:113]
	v_fma_f64 v[112:113], v[94:95], s[2:3], -v[136:137]
	v_add_f64 v[120:121], v[130:131], v[118:119]
	v_fma_f64 v[118:119], v[96:97], s[2:3], -v[134:135]
	v_fmac_f64_e32 v[136:137], s[2:3], v[94:95]
	v_mul_f64 v[90:91], v[90:91], s[20:21]
	v_add_f64 v[118:119], v[118:119], v[116:117]
	v_add_f64 v[116:117], v[136:137], v[120:121]
	v_mul_f64 v[88:89], v[88:89], s[14:15]
	v_fma_f64 v[120:121], s[2:3], v[72:73], v[90:91]
	v_add_f64 v[120:121], v[6:7], v[120:121]
	v_fma_f64 v[122:123], s[10:11], v[48:49], v[88:89]
	v_add_f64 v[120:121], v[122:123], v[120:121]
	v_mul_f64 v[122:123], v[82:83], s[18:19]
	v_fma_f64 v[82:83], s[16:17], v[42:43], v[122:123]
	v_add_f64 v[82:83], v[82:83], v[120:121]
	v_mul_f64 v[120:121], v[84:85], s[4:5]
	v_fma_f64 v[72:73], v[72:73], s[2:3], -v[90:91]
	v_fma_f64 v[84:85], s[0:1], v[74:75], v[120:121]
	v_mul_f64 v[92:93], v[92:93], s[20:21]
	v_fma_f64 v[48:49], v[48:49], s[10:11], -v[88:89]
	v_add_f64 v[72:73], v[6:7], v[72:73]
	v_add_f64 v[82:83], v[84:85], v[82:83]
	v_fma_f64 v[84:85], v[76:77], s[2:3], -v[92:93]
	v_fma_f64 v[42:43], v[42:43], s[16:17], -v[122:123]
	v_add_f64 v[48:49], v[48:49], v[72:73]
	v_fmac_f64_e32 v[92:93], s[2:3], v[76:77]
	v_add_f64 v[84:85], v[4:5], v[84:85]
	v_add_f64 v[42:43], v[42:43], v[48:49]
	;; [unrolled: 1-line block ×11, first 2 shown]
	v_mul_f64 v[102:103], v[102:103], s[14:15]
	v_add_f64 v[6:7], v[32:33], v[6:7]
	v_add_f64 v[4:5], v[56:57], v[4:5]
	v_fma_f64 v[124:125], v[78:79], s[10:11], -v[102:103]
	v_mul_f64 v[98:99], v[98:99], s[18:19]
	v_add_f64 v[6:7], v[24:25], v[6:7]
	v_add_f64 v[4:5], v[50:51], v[4:5]
	;; [unrolled: 1-line block ×3, first 2 shown]
	v_fma_f64 v[124:125], v[80:81], s[16:17], -v[98:99]
	v_mul_f64 v[100:101], v[100:101], s[4:5]
	v_fmac_f64_e32 v[102:103], s[10:11], v[78:79]
	v_add_f64 v[6:7], v[26:27], v[6:7]
	v_add_f64 v[4:5], v[46:47], v[4:5]
	;; [unrolled: 1-line block ×3, first 2 shown]
	v_fma_f64 v[124:125], v[86:87], s[0:1], -v[100:101]
	v_mul_f64 v[104:105], v[104:105], s[8:9]
	v_fmac_f64_e32 v[98:99], s[16:17], v[80:81]
	v_add_f64 v[48:49], v[102:103], v[48:49]
	v_add_f64 v[6:7], v[36:37], v[6:7]
	;; [unrolled: 1-line block ×4, first 2 shown]
	v_fma_f64 v[84:85], s[6:7], v[96:97], v[104:105]
	v_mul_f64 v[106:107], v[106:107], s[8:9]
	v_fma_f64 v[74:75], v[74:75], s[0:1], -v[120:121]
	v_fmac_f64_e32 v[100:101], s[0:1], v[86:87]
	v_add_f64 v[48:49], v[98:99], v[48:49]
	v_add_f64 v[6:7], v[28:29], v[6:7]
	;; [unrolled: 1-line block ×4, first 2 shown]
	v_fma_f64 v[82:83], v[94:95], s[6:7], -v[106:107]
	v_fma_f64 v[96:97], v[96:97], s[6:7], -v[104:105]
	v_add_f64 v[42:43], v[74:75], v[42:43]
	v_fmac_f64_e32 v[106:107], s[6:7], v[94:95]
	v_add_f64 v[48:49], v[100:101], v[48:49]
	v_add_f64 v[6:7], v[30:31], v[6:7]
	;; [unrolled: 1-line block ×3, first 2 shown]
	v_lshl_add_u64 v[24:25], v[52:53], 4, v[54:55]
	s_movk_i32 s0, 0x1000
	v_add_f64 v[74:75], v[96:97], v[42:43]
	v_add_f64 v[72:73], v[106:107], v[48:49]
	global_store_dwordx4 v[24:25], v[4:7], off
	global_store_dwordx4 v[24:25], v[72:75], off offset:1440
	global_store_dwordx4 v[24:25], v[116:119], off offset:2880
	v_add_co_u32_e32 v4, vcc, s0, v24
	s_movk_i32 s0, 0x2000
	s_nop 0
	v_addc_co_u32_e32 v5, vcc, 0, v25, vcc
	global_store_dwordx4 v[4:5], v[108:111], off offset:224
	global_store_dwordx4 v[4:5], v[16:19], off offset:1664
	;; [unrolled: 1-line block ×3, first 2 shown]
	v_add_co_u32_e32 v4, vcc, s0, v24
	v_add_f64 v[112:113], v[112:113], v[132:133]
	s_nop 0
	v_addc_co_u32_e32 v5, vcc, 0, v25, vcc
	global_store_dwordx4 v[4:5], v[0:3], off offset:448
	global_store_dwordx4 v[4:5], v[12:15], off offset:1888
	global_store_dwordx4 v[4:5], v[20:23], off offset:3328
	v_add_co_u32_e32 v0, vcc, 0x3000, v24
	v_add_f64 v[82:83], v[82:83], v[124:125]
	s_nop 0
	v_addc_co_u32_e32 v1, vcc, 0, v25, vcc
	global_store_dwordx4 v[0:1], v[112:115], off offset:672
	global_store_dwordx4 v[0:1], v[82:85], off offset:2112
	s_endpgm
	.section	.rodata,"a",@progbits
	.p2align	6, 0x0
	.amdhsa_kernel fft_rtc_back_len990_factors_2_3_3_5_11_wgs_110_tpt_110_dp_ip_CI_unitstride_sbrr_dirReg
		.amdhsa_group_segment_fixed_size 0
		.amdhsa_private_segment_fixed_size 0
		.amdhsa_kernarg_size 88
		.amdhsa_user_sgpr_count 2
		.amdhsa_user_sgpr_dispatch_ptr 0
		.amdhsa_user_sgpr_queue_ptr 0
		.amdhsa_user_sgpr_kernarg_segment_ptr 1
		.amdhsa_user_sgpr_dispatch_id 0
		.amdhsa_user_sgpr_kernarg_preload_length 0
		.amdhsa_user_sgpr_kernarg_preload_offset 0
		.amdhsa_user_sgpr_private_segment_size 0
		.amdhsa_uses_dynamic_stack 0
		.amdhsa_enable_private_segment 0
		.amdhsa_system_sgpr_workgroup_id_x 1
		.amdhsa_system_sgpr_workgroup_id_y 0
		.amdhsa_system_sgpr_workgroup_id_z 0
		.amdhsa_system_sgpr_workgroup_info 0
		.amdhsa_system_vgpr_workitem_id 0
		.amdhsa_next_free_vgpr 138
		.amdhsa_next_free_sgpr 26
		.amdhsa_accum_offset 140
		.amdhsa_reserve_vcc 1
		.amdhsa_float_round_mode_32 0
		.amdhsa_float_round_mode_16_64 0
		.amdhsa_float_denorm_mode_32 3
		.amdhsa_float_denorm_mode_16_64 3
		.amdhsa_dx10_clamp 1
		.amdhsa_ieee_mode 1
		.amdhsa_fp16_overflow 0
		.amdhsa_tg_split 0
		.amdhsa_exception_fp_ieee_invalid_op 0
		.amdhsa_exception_fp_denorm_src 0
		.amdhsa_exception_fp_ieee_div_zero 0
		.amdhsa_exception_fp_ieee_overflow 0
		.amdhsa_exception_fp_ieee_underflow 0
		.amdhsa_exception_fp_ieee_inexact 0
		.amdhsa_exception_int_div_zero 0
	.end_amdhsa_kernel
	.text
.Lfunc_end0:
	.size	fft_rtc_back_len990_factors_2_3_3_5_11_wgs_110_tpt_110_dp_ip_CI_unitstride_sbrr_dirReg, .Lfunc_end0-fft_rtc_back_len990_factors_2_3_3_5_11_wgs_110_tpt_110_dp_ip_CI_unitstride_sbrr_dirReg
                                        ; -- End function
	.section	.AMDGPU.csdata,"",@progbits
; Kernel info:
; codeLenInByte = 7852
; NumSgprs: 32
; NumVgprs: 138
; NumAgprs: 0
; TotalNumVgprs: 138
; ScratchSize: 0
; MemoryBound: 1
; FloatMode: 240
; IeeeMode: 1
; LDSByteSize: 0 bytes/workgroup (compile time only)
; SGPRBlocks: 3
; VGPRBlocks: 17
; NumSGPRsForWavesPerEU: 32
; NumVGPRsForWavesPerEU: 138
; AccumOffset: 140
; Occupancy: 3
; WaveLimiterHint : 1
; COMPUTE_PGM_RSRC2:SCRATCH_EN: 0
; COMPUTE_PGM_RSRC2:USER_SGPR: 2
; COMPUTE_PGM_RSRC2:TRAP_HANDLER: 0
; COMPUTE_PGM_RSRC2:TGID_X_EN: 1
; COMPUTE_PGM_RSRC2:TGID_Y_EN: 0
; COMPUTE_PGM_RSRC2:TGID_Z_EN: 0
; COMPUTE_PGM_RSRC2:TIDIG_COMP_CNT: 0
; COMPUTE_PGM_RSRC3_GFX90A:ACCUM_OFFSET: 34
; COMPUTE_PGM_RSRC3_GFX90A:TG_SPLIT: 0
	.text
	.p2alignl 6, 3212836864
	.fill 256, 4, 3212836864
	.type	__hip_cuid_af42b5f88cbde30,@object ; @__hip_cuid_af42b5f88cbde30
	.section	.bss,"aw",@nobits
	.globl	__hip_cuid_af42b5f88cbde30
__hip_cuid_af42b5f88cbde30:
	.byte	0                               ; 0x0
	.size	__hip_cuid_af42b5f88cbde30, 1

	.ident	"AMD clang version 19.0.0git (https://github.com/RadeonOpenCompute/llvm-project roc-6.4.0 25133 c7fe45cf4b819c5991fe208aaa96edf142730f1d)"
	.section	".note.GNU-stack","",@progbits
	.addrsig
	.addrsig_sym __hip_cuid_af42b5f88cbde30
	.amdgpu_metadata
---
amdhsa.kernels:
  - .agpr_count:     0
    .args:
      - .actual_access:  read_only
        .address_space:  global
        .offset:         0
        .size:           8
        .value_kind:     global_buffer
      - .offset:         8
        .size:           8
        .value_kind:     by_value
      - .actual_access:  read_only
        .address_space:  global
        .offset:         16
        .size:           8
        .value_kind:     global_buffer
      - .actual_access:  read_only
        .address_space:  global
        .offset:         24
        .size:           8
        .value_kind:     global_buffer
      - .offset:         32
        .size:           8
        .value_kind:     by_value
      - .actual_access:  read_only
        .address_space:  global
        .offset:         40
        .size:           8
        .value_kind:     global_buffer
      - .actual_access:  read_only
        .address_space:  global
        .offset:         48
        .size:           8
        .value_kind:     global_buffer
      - .offset:         56
        .size:           4
        .value_kind:     by_value
      - .actual_access:  read_only
        .address_space:  global
        .offset:         64
        .size:           8
        .value_kind:     global_buffer
      - .actual_access:  read_only
        .address_space:  global
        .offset:         72
        .size:           8
        .value_kind:     global_buffer
      - .address_space:  global
        .offset:         80
        .size:           8
        .value_kind:     global_buffer
    .group_segment_fixed_size: 0
    .kernarg_segment_align: 8
    .kernarg_segment_size: 88
    .language:       OpenCL C
    .language_version:
      - 2
      - 0
    .max_flat_workgroup_size: 110
    .name:           fft_rtc_back_len990_factors_2_3_3_5_11_wgs_110_tpt_110_dp_ip_CI_unitstride_sbrr_dirReg
    .private_segment_fixed_size: 0
    .sgpr_count:     32
    .sgpr_spill_count: 0
    .symbol:         fft_rtc_back_len990_factors_2_3_3_5_11_wgs_110_tpt_110_dp_ip_CI_unitstride_sbrr_dirReg.kd
    .uniform_work_group_size: 1
    .uses_dynamic_stack: false
    .vgpr_count:     138
    .vgpr_spill_count: 0
    .wavefront_size: 64
amdhsa.target:   amdgcn-amd-amdhsa--gfx950
amdhsa.version:
  - 1
  - 2
...

	.end_amdgpu_metadata
